;; amdgpu-corpus repo=ROCm/rocFFT kind=compiled arch=gfx1030 opt=O3
	.text
	.amdgcn_target "amdgcn-amd-amdhsa--gfx1030"
	.amdhsa_code_object_version 6
	.protected	fft_rtc_back_len2002_factors_2_13_7_11_wgs_182_tpt_182_halfLds_half_ip_CI_unitstride_sbrr_dirReg ; -- Begin function fft_rtc_back_len2002_factors_2_13_7_11_wgs_182_tpt_182_halfLds_half_ip_CI_unitstride_sbrr_dirReg
	.globl	fft_rtc_back_len2002_factors_2_13_7_11_wgs_182_tpt_182_halfLds_half_ip_CI_unitstride_sbrr_dirReg
	.p2align	8
	.type	fft_rtc_back_len2002_factors_2_13_7_11_wgs_182_tpt_182_halfLds_half_ip_CI_unitstride_sbrr_dirReg,@function
fft_rtc_back_len2002_factors_2_13_7_11_wgs_182_tpt_182_halfLds_half_ip_CI_unitstride_sbrr_dirReg: ; @fft_rtc_back_len2002_factors_2_13_7_11_wgs_182_tpt_182_halfLds_half_ip_CI_unitstride_sbrr_dirReg
; %bb.0:
	s_clause 0x2
	s_load_dwordx4 s[8:11], s[4:5], 0x0
	s_load_dwordx2 s[2:3], s[4:5], 0x50
	s_load_dwordx2 s[12:13], s[4:5], 0x18
	v_mul_u32_u24_e32 v1, 0x169, v0
	v_mov_b32_e32 v3, 0
	v_add_nc_u32_sdwa v5, s6, v1 dst_sel:DWORD dst_unused:UNUSED_PAD src0_sel:DWORD src1_sel:WORD_1
	v_mov_b32_e32 v1, 0
	v_mov_b32_e32 v6, v3
	v_mov_b32_e32 v2, 0
	s_waitcnt lgkmcnt(0)
	v_cmp_lt_u64_e64 s0, s[10:11], 2
	s_and_b32 vcc_lo, exec_lo, s0
	s_cbranch_vccnz .LBB0_8
; %bb.1:
	s_load_dwordx2 s[0:1], s[4:5], 0x10
	v_mov_b32_e32 v1, 0
	s_add_u32 s6, s12, 8
	v_mov_b32_e32 v2, 0
	s_addc_u32 s7, s13, 0
	s_mov_b64 s[16:17], 1
	s_waitcnt lgkmcnt(0)
	s_add_u32 s14, s0, 8
	s_addc_u32 s15, s1, 0
.LBB0_2:                                ; =>This Inner Loop Header: Depth=1
	s_load_dwordx2 s[18:19], s[14:15], 0x0
                                        ; implicit-def: $vgpr7_vgpr8
	s_mov_b32 s0, exec_lo
	s_waitcnt lgkmcnt(0)
	v_or_b32_e32 v4, s19, v6
	v_cmpx_ne_u64_e32 0, v[3:4]
	s_xor_b32 s1, exec_lo, s0
	s_cbranch_execz .LBB0_4
; %bb.3:                                ;   in Loop: Header=BB0_2 Depth=1
	v_cvt_f32_u32_e32 v4, s18
	v_cvt_f32_u32_e32 v7, s19
	s_sub_u32 s0, 0, s18
	s_subb_u32 s20, 0, s19
	v_fmac_f32_e32 v4, 0x4f800000, v7
	v_rcp_f32_e32 v4, v4
	v_mul_f32_e32 v4, 0x5f7ffffc, v4
	v_mul_f32_e32 v7, 0x2f800000, v4
	v_trunc_f32_e32 v7, v7
	v_fmac_f32_e32 v4, 0xcf800000, v7
	v_cvt_u32_f32_e32 v7, v7
	v_cvt_u32_f32_e32 v4, v4
	v_mul_lo_u32 v8, s0, v7
	v_mul_hi_u32 v9, s0, v4
	v_mul_lo_u32 v10, s20, v4
	v_add_nc_u32_e32 v8, v9, v8
	v_mul_lo_u32 v9, s0, v4
	v_add_nc_u32_e32 v8, v8, v10
	v_mul_hi_u32 v10, v4, v9
	v_mul_lo_u32 v11, v4, v8
	v_mul_hi_u32 v12, v4, v8
	v_mul_hi_u32 v13, v7, v9
	v_mul_lo_u32 v9, v7, v9
	v_mul_hi_u32 v14, v7, v8
	v_mul_lo_u32 v8, v7, v8
	v_add_co_u32 v10, vcc_lo, v10, v11
	v_add_co_ci_u32_e32 v11, vcc_lo, 0, v12, vcc_lo
	v_add_co_u32 v9, vcc_lo, v10, v9
	v_add_co_ci_u32_e32 v9, vcc_lo, v11, v13, vcc_lo
	v_add_co_ci_u32_e32 v10, vcc_lo, 0, v14, vcc_lo
	v_add_co_u32 v8, vcc_lo, v9, v8
	v_add_co_ci_u32_e32 v9, vcc_lo, 0, v10, vcc_lo
	v_add_co_u32 v4, vcc_lo, v4, v8
	v_add_co_ci_u32_e32 v7, vcc_lo, v7, v9, vcc_lo
	v_mul_hi_u32 v8, s0, v4
	v_mul_lo_u32 v10, s20, v4
	v_mul_lo_u32 v9, s0, v7
	v_add_nc_u32_e32 v8, v8, v9
	v_mul_lo_u32 v9, s0, v4
	v_add_nc_u32_e32 v8, v8, v10
	v_mul_hi_u32 v10, v4, v9
	v_mul_lo_u32 v11, v4, v8
	v_mul_hi_u32 v12, v4, v8
	v_mul_hi_u32 v13, v7, v9
	v_mul_lo_u32 v9, v7, v9
	v_mul_hi_u32 v14, v7, v8
	v_mul_lo_u32 v8, v7, v8
	v_add_co_u32 v10, vcc_lo, v10, v11
	v_add_co_ci_u32_e32 v11, vcc_lo, 0, v12, vcc_lo
	v_add_co_u32 v9, vcc_lo, v10, v9
	v_add_co_ci_u32_e32 v9, vcc_lo, v11, v13, vcc_lo
	v_add_co_ci_u32_e32 v10, vcc_lo, 0, v14, vcc_lo
	v_add_co_u32 v8, vcc_lo, v9, v8
	v_add_co_ci_u32_e32 v9, vcc_lo, 0, v10, vcc_lo
	v_add_co_u32 v4, vcc_lo, v4, v8
	v_add_co_ci_u32_e32 v11, vcc_lo, v7, v9, vcc_lo
	v_mul_hi_u32 v13, v5, v4
	v_mad_u64_u32 v[9:10], null, v6, v4, 0
	v_mad_u64_u32 v[7:8], null, v5, v11, 0
	;; [unrolled: 1-line block ×3, first 2 shown]
	v_add_co_u32 v4, vcc_lo, v13, v7
	v_add_co_ci_u32_e32 v7, vcc_lo, 0, v8, vcc_lo
	v_add_co_u32 v4, vcc_lo, v4, v9
	v_add_co_ci_u32_e32 v4, vcc_lo, v7, v10, vcc_lo
	v_add_co_ci_u32_e32 v7, vcc_lo, 0, v12, vcc_lo
	v_add_co_u32 v4, vcc_lo, v4, v11
	v_add_co_ci_u32_e32 v9, vcc_lo, 0, v7, vcc_lo
	v_mul_lo_u32 v10, s19, v4
	v_mad_u64_u32 v[7:8], null, s18, v4, 0
	v_mul_lo_u32 v11, s18, v9
	v_sub_co_u32 v7, vcc_lo, v5, v7
	v_add3_u32 v8, v8, v11, v10
	v_sub_nc_u32_e32 v10, v6, v8
	v_subrev_co_ci_u32_e64 v10, s0, s19, v10, vcc_lo
	v_add_co_u32 v11, s0, v4, 2
	v_add_co_ci_u32_e64 v12, s0, 0, v9, s0
	v_sub_co_u32 v13, s0, v7, s18
	v_sub_co_ci_u32_e32 v8, vcc_lo, v6, v8, vcc_lo
	v_subrev_co_ci_u32_e64 v10, s0, 0, v10, s0
	v_cmp_le_u32_e32 vcc_lo, s18, v13
	v_cmp_eq_u32_e64 s0, s19, v8
	v_cndmask_b32_e64 v13, 0, -1, vcc_lo
	v_cmp_le_u32_e32 vcc_lo, s19, v10
	v_cndmask_b32_e64 v14, 0, -1, vcc_lo
	v_cmp_le_u32_e32 vcc_lo, s18, v7
	;; [unrolled: 2-line block ×3, first 2 shown]
	v_cndmask_b32_e64 v15, 0, -1, vcc_lo
	v_cmp_eq_u32_e32 vcc_lo, s19, v10
	v_cndmask_b32_e64 v7, v15, v7, s0
	v_cndmask_b32_e32 v10, v14, v13, vcc_lo
	v_add_co_u32 v13, vcc_lo, v4, 1
	v_add_co_ci_u32_e32 v14, vcc_lo, 0, v9, vcc_lo
	v_cmp_ne_u32_e32 vcc_lo, 0, v10
	v_cndmask_b32_e32 v8, v14, v12, vcc_lo
	v_cndmask_b32_e32 v10, v13, v11, vcc_lo
	v_cmp_ne_u32_e32 vcc_lo, 0, v7
	v_cndmask_b32_e32 v8, v9, v8, vcc_lo
	v_cndmask_b32_e32 v7, v4, v10, vcc_lo
.LBB0_4:                                ;   in Loop: Header=BB0_2 Depth=1
	s_andn2_saveexec_b32 s0, s1
	s_cbranch_execz .LBB0_6
; %bb.5:                                ;   in Loop: Header=BB0_2 Depth=1
	v_cvt_f32_u32_e32 v4, s18
	s_sub_i32 s1, 0, s18
	v_rcp_iflag_f32_e32 v4, v4
	v_mul_f32_e32 v4, 0x4f7ffffe, v4
	v_cvt_u32_f32_e32 v4, v4
	v_mul_lo_u32 v7, s1, v4
	v_mul_hi_u32 v7, v4, v7
	v_add_nc_u32_e32 v4, v4, v7
	v_mul_hi_u32 v4, v5, v4
	v_mul_lo_u32 v7, v4, s18
	v_add_nc_u32_e32 v8, 1, v4
	v_sub_nc_u32_e32 v7, v5, v7
	v_subrev_nc_u32_e32 v9, s18, v7
	v_cmp_le_u32_e32 vcc_lo, s18, v7
	v_cndmask_b32_e32 v7, v7, v9, vcc_lo
	v_cndmask_b32_e32 v4, v4, v8, vcc_lo
	v_cmp_le_u32_e32 vcc_lo, s18, v7
	v_add_nc_u32_e32 v8, 1, v4
	v_cndmask_b32_e32 v7, v4, v8, vcc_lo
	v_mov_b32_e32 v8, v3
.LBB0_6:                                ;   in Loop: Header=BB0_2 Depth=1
	s_or_b32 exec_lo, exec_lo, s0
	s_load_dwordx2 s[0:1], s[6:7], 0x0
	v_mul_lo_u32 v4, v8, s18
	v_mul_lo_u32 v11, v7, s19
	v_mad_u64_u32 v[9:10], null, v7, s18, 0
	s_add_u32 s16, s16, 1
	s_addc_u32 s17, s17, 0
	s_add_u32 s6, s6, 8
	s_addc_u32 s7, s7, 0
	;; [unrolled: 2-line block ×3, first 2 shown]
	v_add3_u32 v4, v10, v11, v4
	v_sub_co_u32 v5, vcc_lo, v5, v9
	v_sub_co_ci_u32_e32 v4, vcc_lo, v6, v4, vcc_lo
	s_waitcnt lgkmcnt(0)
	v_mul_lo_u32 v6, s1, v5
	v_mul_lo_u32 v4, s0, v4
	v_mad_u64_u32 v[1:2], null, s0, v5, v[1:2]
	v_cmp_ge_u64_e64 s0, s[16:17], s[10:11]
	s_and_b32 vcc_lo, exec_lo, s0
	v_add3_u32 v2, v6, v2, v4
	s_cbranch_vccnz .LBB0_9
; %bb.7:                                ;   in Loop: Header=BB0_2 Depth=1
	v_mov_b32_e32 v5, v7
	v_mov_b32_e32 v6, v8
	s_branch .LBB0_2
.LBB0_8:
	v_mov_b32_e32 v8, v6
	v_mov_b32_e32 v7, v5
.LBB0_9:
	s_lshl_b64 s[0:1], s[10:11], 3
	v_mul_hi_u32 v3, 0x1681682, v0
	s_add_u32 s0, s12, s0
	s_addc_u32 s1, s13, s1
	v_mov_b32_e32 v6, 0
	s_load_dwordx2 s[0:1], s[0:1], 0x0
	s_load_dwordx2 s[4:5], s[4:5], 0x20
	v_mov_b32_e32 v10, 0
                                        ; implicit-def: $vgpr23
                                        ; implicit-def: $vgpr15
                                        ; implicit-def: $vgpr21
                                        ; implicit-def: $vgpr13
                                        ; implicit-def: $vgpr24
                                        ; implicit-def: $vgpr11
                                        ; implicit-def: $vgpr22
                                        ; implicit-def: $vgpr17
                                        ; implicit-def: $vgpr26
                                        ; implicit-def: $vgpr12
                                        ; implicit-def: $vgpr25
                                        ; implicit-def: $vgpr19
                                        ; implicit-def: $vgpr28
                                        ; implicit-def: $vgpr16
                                        ; implicit-def: $vgpr27
                                        ; implicit-def: $vgpr20
                                        ; implicit-def: $vgpr29
                                        ; implicit-def: $vgpr18
                                        ; implicit-def: $vgpr14
                                        ; implicit-def: $vgpr30
	v_mul_u32_u24_e32 v3, 0xb6, v3
	v_sub_nc_u32_e32 v0, v0, v3
                                        ; implicit-def: $vgpr3
	s_waitcnt lgkmcnt(0)
	v_mul_lo_u32 v4, s0, v8
	v_mul_lo_u32 v5, s1, v7
	v_mad_u64_u32 v[1:2], null, s0, v7, v[1:2]
	v_cmp_gt_u64_e32 vcc_lo, s[4:5], v[7:8]
                                        ; implicit-def: $vgpr7
	v_add3_u32 v2, v5, v2, v4
	v_lshlrev_b64 v[8:9], 2, v[1:2]
	v_mov_b32_e32 v1, 0
	s_and_saveexec_b32 s1, vcc_lo
	s_cbranch_execz .LBB0_13
; %bb.10:
	v_mov_b32_e32 v1, 0
	v_add_co_u32 v4, s0, s2, v8
	v_add_co_ci_u32_e64 v5, s0, s3, v9, s0
	v_lshlrev_b64 v[2:3], 2, v[0:1]
	v_mov_b32_e32 v6, v1
	s_mov_b32 s4, exec_lo
                                        ; implicit-def: $vgpr30
	v_add_co_u32 v14, s0, v4, v2
	v_add_co_ci_u32_e64 v15, s0, v5, v3, s0
	v_add_co_u32 v4, s0, 0x1000, v14
	v_add_co_ci_u32_e64 v5, s0, 0, v15, s0
	;; [unrolled: 2-line block ×3, first 2 shown]
	s_clause 0x1
	global_load_dword v11, v[4:5], off offset:636
	global_load_dword v12, v[4:5], off offset:1364
	v_add_co_u32 v4, s0, 0x1800, v14
	v_add_co_ci_u32_e64 v5, s0, 0, v15, s0
	s_clause 0x7
	global_load_dword v7, v[14:15], off
	global_load_dword v13, v[14:15], off offset:728
	global_load_dword v17, v[14:15], off offset:1456
	;; [unrolled: 1-line block ×7, first 2 shown]
                                        ; implicit-def: $vgpr14
	v_cmpx_gt_u32_e32 0x5b, v0
	s_cbranch_execz .LBB0_12
; %bb.11:
	s_clause 0x1
	global_load_dword v1, v[2:3], off offset:1592
	global_load_dword v30, v[4:5], off offset:1500
	s_waitcnt vmcnt(1)
	v_lshrrev_b32_e32 v6, 16, v1
	s_waitcnt vmcnt(0)
	v_lshrrev_b32_e32 v14, 16, v30
.LBB0_12:
	s_or_b32 exec_lo, exec_lo, s4
	s_waitcnt vmcnt(7)
	v_lshrrev_b32_e32 v3, 16, v7
	s_waitcnt vmcnt(3)
	v_lshrrev_b32_e32 v23, 16, v15
	v_lshrrev_b32_e32 v21, 16, v13
	;; [unrolled: 1-line block ×6, first 2 shown]
	s_waitcnt vmcnt(1)
	v_lshrrev_b32_e32 v28, 16, v16
	v_lshrrev_b32_e32 v27, 16, v20
	s_waitcnt vmcnt(0)
	v_lshrrev_b32_e32 v29, 16, v18
	v_mov_b32_e32 v10, v0
.LBB0_13:
	s_or_b32 exec_lo, exec_lo, s1
	v_sub_f16_e32 v4, v7, v15
	v_sub_f16_e32 v5, v13, v11
	;; [unrolled: 1-line block ×5, first 2 shown]
	v_fma_f16 v7, v7, 2.0, -v4
	v_fma_f16 v16, v13, 2.0, -v5
	v_sub_f16_e32 v13, v1, v30
	v_add_nc_u32_e32 v2, 0xb6, v0
	v_add_nc_u32_e32 v34, 0x38e, v0
	v_fma_f16 v18, v17, 2.0, -v11
	v_fma_f16 v17, v19, 2.0, -v12
	v_lshl_add_u32 v31, v0, 2, 0
	v_fma_f16 v19, v20, 2.0, -v15
	v_fma_f16 v1, v1, 2.0, -v13
	v_pack_b32_f16 v20, v7, v4
	v_lshl_add_u32 v33, v2, 2, 0
	v_cmp_gt_u32_e64 s0, 0x5b, v0
	v_lshl_add_u32 v34, v34, 2, 0
	v_pack_b32_f16 v30, v16, v5
	v_pack_b32_f16 v32, v18, v11
	;; [unrolled: 1-line block ×3, first 2 shown]
	v_add_nc_u32_e32 v36, 0x500, v31
	v_pack_b32_f16 v37, v19, v15
	ds_write_b32 v31, v20
	ds_write_b32 v33, v30
	ds_write2_b32 v36, v32, v35 offset0:44 offset1:226
	ds_write_b32 v31, v37 offset:2912
	s_and_saveexec_b32 s1, s0
	s_cbranch_execz .LBB0_15
; %bb.14:
	v_perm_b32 v20, v13, v1, 0x5040100
	ds_write_b32 v34, v20
.LBB0_15:
	s_or_b32 exec_lo, exec_lo, s1
	v_add_nc_u32_e32 v35, 0x5b0, v31
	v_add_nc_u32_e32 v36, 0x888, v31
	;; [unrolled: 1-line block ×3, first 2 shown]
	v_cmp_gt_u32_e64 s1, 0x9a, v0
	s_waitcnt lgkmcnt(0)
	s_barrier
	buffer_gl0_inv
                                        ; implicit-def: $vgpr20
	s_and_saveexec_b32 s4, s1
	s_cbranch_execz .LBB0_17
; %bb.16:
	v_lshlrev_b32_e32 v1, 1, v0
	v_sub_nc_u32_e32 v20, v31, v1
	ds_read_u16 v7, v20
	ds_read_u16 v4, v20 offset:308
	ds_read_u16 v16, v20 offset:616
	;; [unrolled: 1-line block ×12, first 2 shown]
.LBB0_17:
	s_or_b32 exec_lo, exec_lo, s4
	v_sub_f16_e32 v30, v3, v23
	v_sub_f16_e32 v45, v21, v24
	;; [unrolled: 1-line block ×5, first 2 shown]
	v_fma_f16 v3, v3, 2.0, -v30
	v_sub_f16_e32 v32, v6, v14
	v_fma_f16 v29, v21, 2.0, -v45
	v_fma_f16 v28, v22, 2.0, -v26
	;; [unrolled: 1-line block ×5, first 2 shown]
	v_pack_b32_f16 v6, v3, v30
	v_pack_b32_f16 v14, v29, v45
	;; [unrolled: 1-line block ×5, first 2 shown]
	s_waitcnt lgkmcnt(0)
	s_barrier
	buffer_gl0_inv
	ds_write_b32 v31, v6
	ds_write_b32 v33, v14
	;; [unrolled: 1-line block ×5, first 2 shown]
	s_and_saveexec_b32 s4, s0
	s_cbranch_execz .LBB0_19
; %bb.18:
	v_perm_b32 v6, v32, v21, 0x5040100
	ds_write_b32 v34, v6
.LBB0_19:
	s_or_b32 exec_lo, exec_lo, s4
	v_lshl_add_u32 v14, v0, 1, 0
	s_waitcnt lgkmcnt(0)
	s_barrier
	buffer_gl0_inv
                                        ; implicit-def: $vgpr46
	s_and_saveexec_b32 s0, s1
	s_cbranch_execz .LBB0_21
; %bb.20:
	ds_read_u16 v3, v14
	ds_read_u16 v30, v14 offset:308
	ds_read_u16 v29, v14 offset:616
	;; [unrolled: 1-line block ×12, first 2 shown]
.LBB0_21:
	s_or_b32 exec_lo, exec_lo, s0
	v_and_b32_e32 v6, 1, v0
	v_mul_u32_u24_e32 v27, 12, v6
	v_lshlrev_b32_e32 v27, 2, v27
	s_clause 0x2
	global_load_dwordx4 v[47:50], v27, s[8:9]
	global_load_dwordx4 v[51:54], v27, s[8:9] offset:16
	global_load_dwordx4 v[55:58], v27, s[8:9] offset:32
	s_waitcnt vmcnt(0) lgkmcnt(0)
	s_barrier
	buffer_gl0_inv
	v_mul_f16_sdwa v27, v4, v47 dst_sel:DWORD dst_unused:UNUSED_PAD src0_sel:DWORD src1_sel:WORD_1
	v_mul_f16_sdwa v34, v24, v53 dst_sel:DWORD dst_unused:UNUSED_PAD src0_sel:DWORD src1_sel:WORD_1
	;; [unrolled: 1-line block ×12, first 2 shown]
	v_fma_f16 v31, v30, v47, -v27
	v_fmac_f16_e32 v34, v12, v53
	v_fma_f16 v12, v46, v58, -v69
	v_mul_f16_sdwa v36, v45, v49 dst_sel:DWORD dst_unused:UNUSED_PAD src0_sel:DWORD src1_sel:WORD_1
	v_mul_f16_sdwa v60, v5, v49 dst_sel:DWORD dst_unused:UNUSED_PAD src0_sel:DWORD src1_sel:WORD_1
	;; [unrolled: 1-line block ×10, first 2 shown]
	v_fmac_f16_e32 v39, v4, v47
	v_fmac_f16_e32 v40, v16, v48
	v_fma_f16 v30, v29, v48, -v59
	v_fma_f16 v28, v28, v50, -v61
	;; [unrolled: 1-line block ×3, first 2 shown]
	v_fmac_f16_e32 v42, v1, v56
	v_fmac_f16_e32 v44, v20, v58
	v_fma_f16 v16, v32, v57, -v68
	v_sub_f16_e32 v1, v31, v12
	v_mul_f16_sdwa v35, v26, v51 dst_sel:DWORD dst_unused:UNUSED_PAD src0_sel:DWORD src1_sel:WORD_1
	v_mul_f16_sdwa v33, v25, v52 dst_sel:DWORD dst_unused:UNUSED_PAD src0_sel:DWORD src1_sel:WORD_1
	v_fmac_f16_e32 v36, v5, v49
	v_fma_f16 v29, v45, v49, -v60
	v_fma_f16 v27, v26, v51, -v62
	;; [unrolled: 1-line block ×4, first 2 shown]
	v_fmac_f16_e32 v38, v19, v54
	v_fma_f16 v24, v22, v54, -v65
	v_fmac_f16_e32 v43, v13, v57
	v_fma_f16 v22, v21, v56, -v67
	v_add_f16_e32 v49, v39, v44
	v_sub_f16_e32 v4, v30, v16
	v_sub_f16_e32 v32, v28, v23
	v_pk_mul_f16 v19, 0xb770ba95, v1 op_sel_hi:[1,0]
	v_pk_mul_f16 v47, 0xbbf1bb7b, v1 op_sel_hi:[1,0]
	;; [unrolled: 1-line block ×3, first 2 shown]
	v_fmac_f16_e32 v37, v18, v50
	v_fmac_f16_e32 v41, v15, v55
	v_add_f16_e32 v50, v40, v43
	v_sub_f16_e32 v5, v29, v22
	v_pk_mul_f16 v18, 0xba95bb7b, v4 op_sel_hi:[1,0]
	v_pk_mul_f16 v15, 0xbb7b394e, v32 op_sel_hi:[1,0]
	;; [unrolled: 1-line block ×6, first 2 shown]
	v_pk_fma_f16 v1, 0x3b15388b, v49, v19 op_sel_hi:[1,0,1] neg_lo:[0,0,1] neg_hi:[0,0,1]
	v_pk_fma_f16 v32, 0x2fb7b5ac, v49, v47 op_sel_hi:[1,0,1] neg_lo:[0,0,1] neg_hi:[0,0,1]
	;; [unrolled: 1-line block ×3, first 2 shown]
	v_fmac_f16_e32 v35, v11, v51
	v_fmac_f16_e32 v33, v17, v52
	v_add_f16_e32 v51, v36, v42
	v_pk_mul_f16 v17, 0xbbf1b3a8, v5 op_sel_hi:[1,0]
	v_pk_mul_f16 v46, 0x3b7b3770, v5 op_sel_hi:[1,0]
	v_pk_mul_f16 v59, 0xba95b94e, v5 op_sel_hi:[1,0]
	v_pk_fma_f16 v4, 0x388bb5ac, v50, v18 op_sel_hi:[1,0,1] neg_lo:[0,0,1] neg_hi:[0,0,1]
	v_pk_fma_f16 v63, 0xbbc4b9fd, v50, v48 op_sel_hi:[1,0,1] neg_lo:[0,0,1] neg_hi:[0,0,1]
	;; [unrolled: 1-line block ×3, first 2 shown]
	v_pk_add_f16 v1, v7, v1 op_sel_hi:[0,1]
	v_pk_add_f16 v32, v7, v32 op_sel_hi:[0,1]
	;; [unrolled: 1-line block ×3, first 2 shown]
	v_add_f16_e32 v52, v37, v41
	v_sub_f16_e32 v55, v27, v24
	v_pk_fma_f16 v5, 0x2fb7bbc4, v51, v17 op_sel_hi:[1,0,1] neg_lo:[0,0,1] neg_hi:[0,0,1]
	v_pk_fma_f16 v66, 0xb5ac3b15, v51, v46 op_sel_hi:[1,0,1] neg_lo:[0,0,1] neg_hi:[0,0,1]
	;; [unrolled: 1-line block ×3, first 2 shown]
	v_pk_add_f16 v1, v4, v1
	v_pk_add_f16 v4, v63, v32
	;; [unrolled: 1-line block ×3, first 2 shown]
	v_add_f16_e32 v53, v35, v38
	v_sub_f16_e32 v56, v26, v25
	v_pk_mul_f16 v13, 0xb94e3bf1, v55 op_sel_hi:[1,0]
	v_pk_mul_f16 v21, 0xba9533a8, v55 op_sel_hi:[1,0]
	;; [unrolled: 1-line block ×3, first 2 shown]
	v_pk_fma_f16 v61, 0xb5acb9fd, v52, v15 op_sel_hi:[1,0,1] neg_lo:[0,0,1] neg_hi:[0,0,1]
	v_pk_fma_f16 v62, 0x3b152fb7, v52, v45 op_sel_hi:[1,0,1] neg_lo:[0,0,1] neg_hi:[0,0,1]
	;; [unrolled: 1-line block ×3, first 2 shown]
	v_pk_add_f16 v1, v5, v1
	v_pk_add_f16 v4, v66, v4
	;; [unrolled: 1-line block ×3, first 2 shown]
	v_add_f16_e32 v54, v33, v34
	v_pk_mul_f16 v11, 0xb3a83770, v56 op_sel_hi:[1,0]
	v_pk_mul_f16 v20, 0xb94e3a95, v56 op_sel_hi:[1,0]
	;; [unrolled: 1-line block ×3, first 2 shown]
	v_pk_fma_f16 v65, 0xb9fd2fb7, v53, v13 op_sel_hi:[1,0,1] neg_lo:[0,0,1] neg_hi:[0,0,1]
	v_pk_fma_f16 v32, 0x388bbbc4, v53, v21 op_sel_hi:[1,0,1] neg_lo:[0,0,1] neg_hi:[0,0,1]
	;; [unrolled: 1-line block ×3, first 2 shown]
	v_pk_add_f16 v1, v61, v1
	v_pk_add_f16 v4, v62, v4
	;; [unrolled: 1-line block ×3, first 2 shown]
	v_pk_fma_f16 v68, 0xbbc43b15, v54, v11 op_sel_hi:[1,0,1] neg_lo:[0,0,1] neg_hi:[0,0,1]
	v_pk_fma_f16 v61, 0xb9fd388b, v54, v20 op_sel_hi:[1,0,1] neg_lo:[0,0,1] neg_hi:[0,0,1]
	;; [unrolled: 1-line block ×3, first 2 shown]
	v_pk_add_f16 v1, v65, v1
	v_pk_add_f16 v32, v32, v4
	;; [unrolled: 1-line block ×6, first 2 shown]
	v_lshrrev_b32_e32 v32, 1, v0
	s_and_saveexec_b32 s0, s1
	s_cbranch_execz .LBB0_23
; %bb.22:
	v_add_f16_e32 v61, v7, v39
	v_pk_mul_f16 v62, 0x3b15388b, v49 op_sel_hi:[1,0]
	v_pk_mul_f16 v68, 0x2fb7b5ac, v49 op_sel_hi:[1,0]
	;; [unrolled: 1-line block ×4, first 2 shown]
	v_add_f16_e32 v61, v61, v40
	v_pk_mul_f16 v69, 0xbbc4b9fd, v50 op_sel_hi:[1,0]
	v_pk_mul_f16 v50, 0x2fb73b15, v50 op_sel_hi:[1,0]
	v_pk_add_f16 v49, v49, v57
	v_pk_mul_f16 v64, 0x2fb7bbc4, v51 op_sel_hi:[1,0]
	v_add_f16_e32 v61, v61, v36
	v_pk_mul_f16 v66, 0xb9fd2fb7, v53 op_sel_hi:[1,0]
	v_pk_mul_f16 v70, 0xb5ac3b15, v51 op_sel_hi:[1,0]
	;; [unrolled: 1-line block ×5, first 2 shown]
	v_pk_add_f16 v50, v50, v58
	v_add_f16_e32 v58, v7, v49
	v_add_f16_sdwa v49, v7, v49 dst_sel:DWORD dst_unused:UNUSED_PAD src0_sel:DWORD src1_sel:WORD_1
	v_add_f16_e32 v61, v61, v37
	v_pk_mul_f16 v65, 0xb5acb9fd, v52 op_sel_hi:[1,0]
	v_pk_mul_f16 v71, 0x3b152fb7, v52 op_sel_hi:[1,0]
	v_pk_mul_f16 v52, 0xbbc4388b, v52 op_sel_hi:[1,0]
	v_pk_add_f16 v51, v51, v59
	v_pk_add_f16 v53, v53, v55
	v_add_f16_e32 v55, v50, v58
	v_add_f16_sdwa v49, v50, v49 dst_sel:DWORD dst_unused:UNUSED_PAD src0_sel:WORD_1 src1_sel:DWORD
	v_add_f16_e32 v61, v61, v35
	v_pk_add_f16 v52, v52, v60
	v_pk_add_f16 v19, v62, v19
	v_add_f16_e32 v55, v51, v55
	v_add_f16_sdwa v49, v51, v49 dst_sel:DWORD dst_unused:UNUSED_PAD src0_sel:WORD_1 src1_sel:DWORD
	v_add_f16_e32 v57, v61, v33
	;; [unrolled: 5-line block ×3, first 2 shown]
	v_pk_add_f16 v48, v69, v48
	v_add_f16_e32 v51, v7, v47
	v_add_f16_e32 v52, v53, v55
	v_add_f16_sdwa v49, v53, v49 dst_sel:DWORD dst_unused:UNUSED_PAD src0_sel:WORD_1 src1_sel:DWORD
	v_add_f16_sdwa v53, v7, v19 dst_sel:DWORD dst_unused:UNUSED_PAD src0_sel:DWORD src1_sel:WORD_1
	v_add_f16_e32 v19, v7, v19
	v_add_f16_sdwa v7, v7, v47 dst_sel:DWORD dst_unused:UNUSED_PAD src0_sel:DWORD src1_sel:WORD_1
	v_add_f16_e32 v50, v57, v38
	v_pk_mul_f16 v73, 0xb9fd388b, v54 op_sel_hi:[1,0]
	v_pk_add_f16 v17, v64, v17
	v_add_f16_sdwa v47, v18, v53 dst_sel:DWORD dst_unused:UNUSED_PAD src0_sel:WORD_1 src1_sel:DWORD
	v_add_f16_e32 v18, v18, v19
	v_pk_add_f16 v46, v70, v46
	v_add_f16_sdwa v7, v48, v7 dst_sel:DWORD dst_unused:UNUSED_PAD src0_sel:WORD_1 src1_sel:DWORD
	v_add_f16_e32 v51, v48, v51
	v_add_f16_e32 v50, v50, v41
	v_pk_add_f16 v19, v73, v20
	v_pk_add_f16 v15, v65, v15
	v_add_f16_sdwa v20, v17, v47 dst_sel:DWORD dst_unused:UNUSED_PAD src0_sel:WORD_1 src1_sel:DWORD
	v_add_f16_e32 v17, v17, v18
	v_pk_add_f16 v45, v71, v45
	v_add_f16_sdwa v7, v46, v7 dst_sel:DWORD dst_unused:UNUSED_PAD src0_sel:WORD_1 src1_sel:DWORD
	v_add_f16_e32 v51, v46, v51
	v_add_f16_e32 v50, v50, v42
	v_mul_u32_u24_e32 v18, 26, v32
	v_pk_mul_f16 v67, 0xbbc43b15, v54 op_sel_hi:[1,0]
	v_pk_add_f16 v13, v66, v13
	v_add_f16_sdwa v20, v15, v20 dst_sel:DWORD dst_unused:UNUSED_PAD src0_sel:WORD_1 src1_sel:DWORD
	v_add_f16_e32 v15, v15, v17
	v_pk_add_f16 v21, v72, v21
	v_add_f16_sdwa v7, v45, v7 dst_sel:DWORD dst_unused:UNUSED_PAD src0_sel:WORD_1 src1_sel:DWORD
	v_add_f16_e32 v51, v45, v51
	v_pk_mul_f16 v54, 0xb5ac2fb7, v54 op_sel_hi:[1,0]
	v_add_f16_e32 v50, v50, v43
	v_or_b32_e32 v17, v18, v6
	v_pk_add_f16 v11, v67, v11
	v_add_f16_sdwa v18, v13, v20 dst_sel:DWORD dst_unused:UNUSED_PAD src0_sel:WORD_1 src1_sel:DWORD
	v_add_f16_e32 v13, v13, v15
	v_add_f16_sdwa v7, v21, v7 dst_sel:DWORD dst_unused:UNUSED_PAD src0_sel:WORD_1 src1_sel:DWORD
	v_add_f16_e32 v15, v21, v51
	v_pk_add_f16 v54, v54, v56
	v_add_f16_e32 v50, v50, v44
	v_lshl_add_u32 v17, v17, 1, 0
	v_add_f16_sdwa v18, v11, v18 dst_sel:DWORD dst_unused:UNUSED_PAD src0_sel:WORD_1 src1_sel:DWORD
	v_add_f16_e32 v11, v11, v13
	v_add_f16_sdwa v7, v19, v7 dst_sel:DWORD dst_unused:UNUSED_PAD src0_sel:WORD_1 src1_sel:DWORD
	v_add_f16_e32 v13, v19, v15
	v_add_f16_e32 v52, v54, v52
	v_add_f16_sdwa v49, v54, v49 dst_sel:DWORD dst_unused:UNUSED_PAD src0_sel:WORD_1 src1_sel:DWORD
	ds_write_b16 v17, v50
	ds_write_b16 v17, v18 offset:4
	ds_write_b16 v17, v11 offset:8
	ds_write_b16 v17, v7 offset:12
	ds_write_b16 v17, v13 offset:16
	ds_write_b16 v17, v49 offset:20
	ds_write_b16 v17, v52 offset:24
	ds_write_b16 v17, v1 offset:28
	ds_write_b16_d16_hi v17, v1 offset:32
	ds_write_b16 v17, v5 offset:36
	ds_write_b16_d16_hi v17, v5 offset:40
	ds_write_b16 v17, v4 offset:44
	ds_write_b16_d16_hi v17, v4 offset:48
.LBB0_23:
	s_or_b32 exec_lo, exec_lo, s0
	s_waitcnt lgkmcnt(0)
	s_barrier
	buffer_gl0_inv
	ds_read_u16 v11, v14
	ds_read_u16 v21, v14 offset:572
	ds_read_u16 v20, v14 offset:1144
	;; [unrolled: 1-line block ×6, first 2 shown]
	v_cmp_gt_u32_e64 s0, 0x68, v0
                                        ; implicit-def: $vgpr15
	s_and_saveexec_b32 s4, s0
	s_cbranch_execz .LBB0_25
; %bb.24:
	ds_read_u16 v1, v14 offset:364
	ds_read_u16 v5, v14 offset:1508
	;; [unrolled: 1-line block ×4, first 2 shown]
	s_waitcnt lgkmcnt(3)
	ds_read_u16_d16_hi v1, v14 offset:936
	s_waitcnt lgkmcnt(3)
	ds_read_u16_d16_hi v5, v14 offset:2080
	;; [unrolled: 2-line block ×3, first 2 shown]
.LBB0_25:
	s_or_b32 exec_lo, exec_lo, s4
	v_add_f16_e32 v7, v31, v12
	v_sub_f16_e32 v44, v39, v44
	v_add_f16_e32 v39, v30, v16
	v_sub_f16_e32 v47, v40, v43
	v_add_f16_e32 v40, v29, v22
	v_pk_mul_f16 v43, 0x388b2fb7, v7 op_sel_hi:[1,0]
	v_sub_f16_e32 v55, v37, v41
	v_pk_mul_f16 v41, 0xb5acbbc4, v39 op_sel_hi:[1,0]
	v_sub_f16_e32 v54, v36, v42
	v_add_f16_e32 v36, v28, v23
	v_pk_fma_f16 v37, 0xba95bbf1, v44, v43 op_sel_hi:[1,0,1]
	v_sub_f16_e32 v56, v35, v38
	v_pk_mul_f16 v48, 0xbbc4b5ac, v40 op_sel_hi:[1,0]
	v_pk_fma_f16 v35, 0xbb7bb3a8, v47, v41 op_sel_hi:[1,0,1]
	v_add_f16_e32 v59, v27, v24
	v_pk_add_f16 v37, v3, v37 op_sel_hi:[0,1]
	v_sub_f16_e32 v57, v33, v34
	v_pk_mul_f16 v53, 0xb9fd3b15, v36 op_sel_hi:[1,0]
	v_pk_fma_f16 v33, 0xb3a83b7b, v54, v48 op_sel_hi:[1,0,1]
	v_pk_mul_f16 v51, 0x2fb7388b, v59 op_sel_hi:[1,0]
	v_pk_add_f16 v34, v35, v37
	v_pk_mul_f16 v49, 0xb9fd3b15, v7 op_sel_hi:[1,0]
	v_pk_fma_f16 v35, 0x394e3770, v55, v53 op_sel_hi:[1,0,1]
	v_pk_mul_f16 v46, 0xb5acbbc4, v7 op_sel_hi:[1,0]
	v_pk_mul_f16 v50, 0x2fb7388b, v39 op_sel_hi:[1,0]
	v_pk_add_f16 v33, v33, v34
	v_pk_fma_f16 v7, 0x3bf1ba95, v56, v51 op_sel_hi:[1,0,1]
	v_pk_fma_f16 v34, 0xb94eb770, v44, v49 op_sel_hi:[1,0,1]
	v_pk_mul_f16 v38, 0xb9fd3b15, v39 op_sel_hi:[1,0]
	v_pk_fma_f16 v37, 0x3bf1ba95, v47, v50 op_sel_hi:[1,0,1]
	v_pk_add_f16 v33, v35, v33
	v_pk_fma_f16 v35, 0xbb7bb3a8, v44, v46 op_sel_hi:[1,0,1]
	v_pk_add_f16 v34, v3, v34 op_sel_hi:[0,1]
	v_pk_mul_f16 v58, 0x388b2fb7, v40 op_sel_hi:[1,0]
	v_pk_mul_f16 v39, 0x3b15b9fd, v40 op_sel_hi:[1,0]
	v_pk_add_f16 v7, v7, v33
	v_pk_add_f16 v33, v3, v35 op_sel_hi:[0,1]
	v_pk_fma_f16 v35, 0x394e3770, v47, v38 op_sel_hi:[1,0,1]
	v_pk_add_f16 v34, v37, v34
	v_pk_fma_f16 v37, 0xba95bbf1, v54, v58 op_sel_hi:[1,0,1]
	v_pk_mul_f16 v42, 0xbbc4b5ac, v36 op_sel_hi:[1,0]
	v_pk_mul_f16 v40, 0x2fb7388b, v36 op_sel_hi:[1,0]
	v_pk_add_f16 v33, v35, v33
	v_pk_fma_f16 v35, 0x3770b94e, v54, v39 op_sel_hi:[1,0,1]
	v_add_f16_e32 v60, v26, v25
	v_pk_add_f16 v34, v37, v34
	v_pk_fma_f16 v37, 0x33a8bb7b, v55, v42 op_sel_hi:[1,0,1]
	v_pk_mul_f16 v45, 0x3b15b9fd, v59 op_sel_hi:[1,0]
	v_pk_add_f16 v33, v35, v33
	v_pk_fma_f16 v61, 0xbbf13a95, v55, v40 op_sel_hi:[1,0,1]
	v_pk_mul_f16 v36, 0xbbc4b5ac, v59 op_sel_hi:[1,0]
	v_pk_mul_f16 v52, 0x3b15b9fd, v60 op_sel_hi:[1,0]
	v_pk_add_f16 v34, v37, v34
	v_pk_fma_f16 v59, 0x3770b94e, v56, v45 op_sel_hi:[1,0,1]
	v_pk_mul_f16 v35, 0xb5acbbc4, v60 op_sel_hi:[1,0]
	v_pk_add_f16 v33, v61, v33
	v_pk_fma_f16 v61, 0x33a8bb7b, v56, v36 op_sel_hi:[1,0,1]
	v_pk_mul_f16 v37, 0x388b2fb7, v60 op_sel_hi:[1,0]
	v_pk_fma_f16 v60, 0x3770b94e, v57, v52 op_sel_hi:[1,0,1]
	v_pk_add_f16 v59, v59, v34
	v_pk_fma_f16 v62, 0xbb7bb3a8, v57, v35 op_sel_hi:[1,0,1]
	v_pk_add_f16 v61, v61, v33
	;; [unrolled: 2-line block ×3, first 2 shown]
	s_waitcnt lgkmcnt(0)
	v_pk_add_f16 v33, v62, v59
	s_barrier
	v_pk_add_f16 v7, v63, v61
	buffer_gl0_inv
	s_and_saveexec_b32 s4, s1
	s_cbranch_execz .LBB0_27
; %bb.26:
	v_add_f16_e32 v31, v3, v31
	v_pk_mul_f16 v59, 0xba95bbf1, v44 op_sel_hi:[1,0]
	v_pk_mul_f16 v60, 0xbb7bb3a8, v47 op_sel_hi:[1,0]
	;; [unrolled: 1-line block ×4, first 2 shown]
	v_add_f16_e32 v30, v31, v30
	v_pk_add_f16 v43, v43, v59 neg_lo:[0,1] neg_hi:[0,1]
	v_pk_mul_f16 v31, 0x3bf1ba95, v56 op_sel_hi:[1,0]
	v_pk_add_f16 v41, v41, v60 neg_lo:[0,1] neg_hi:[0,1]
	v_pk_mul_f16 v64, 0xb94eb770, v44 op_sel_hi:[1,0]
	v_add_f16_e32 v29, v30, v29
	v_pk_mul_f16 v65, 0x3bf1ba95, v47 op_sel_hi:[1,0]
	v_pk_mul_f16 v30, 0xba95bbf1, v54 op_sel_hi:[1,0]
	;; [unrolled: 1-line block ×4, first 2 shown]
	v_add_f16_e32 v28, v29, v28
	v_pk_mul_f16 v29, 0xbb7bb3a8, v44 op_sel_hi:[1,0]
	v_pk_mul_f16 v44, 0x394e3770, v47 op_sel_hi:[1,0]
	;; [unrolled: 1-line block ×4, first 2 shown]
	v_add_f16_e32 v27, v28, v27
	v_pk_add_f16 v29, v46, v29 neg_lo:[0,1] neg_hi:[0,1]
	v_pk_mul_f16 v67, 0x3770b94e, v56 op_sel_hi:[1,0]
	v_pk_mul_f16 v28, 0x33a8bb7b, v56 op_sel_hi:[1,0]
	;; [unrolled: 1-line block ×3, first 2 shown]
	v_add_f16_e32 v26, v27, v26
	v_pk_add_f16 v27, v48, v61 neg_lo:[0,1] neg_hi:[0,1]
	v_pk_add_f16 v48, v53, v62 neg_lo:[0,1] neg_hi:[0,1]
	v_add_f16_sdwa v53, v3, v43 dst_sel:DWORD dst_unused:UNUSED_PAD src0_sel:DWORD src1_sel:WORD_1
	v_add_f16_e32 v43, v3, v43
	v_add_f16_e32 v25, v26, v25
	v_pk_add_f16 v26, v51, v31 neg_lo:[0,1] neg_hi:[0,1]
	v_pk_add_f16 v31, v52, v63 neg_lo:[0,1] neg_hi:[0,1]
	v_add_f16_sdwa v51, v41, v53 dst_sel:DWORD dst_unused:UNUSED_PAD src0_sel:WORD_1 src1_sel:DWORD
	v_add_f16_e32 v41, v41, v43
	v_add_f16_e32 v24, v25, v24
	v_pk_add_f16 v25, v49, v64 neg_lo:[0,1] neg_hi:[0,1]
	v_pk_add_f16 v43, v50, v65 neg_lo:[0,1] neg_hi:[0,1]
	v_add_f16_sdwa v49, v27, v51 dst_sel:DWORD dst_unused:UNUSED_PAD src0_sel:WORD_1 src1_sel:DWORD
	v_add_f16_e32 v27, v27, v41
	v_add_f16_e32 v23, v24, v23
	v_pk_add_f16 v24, v58, v30 neg_lo:[0,1] neg_hi:[0,1]
	v_pk_mul_f16 v55, 0x3a953bf1, v57 op_sel_hi:[1,0]
	v_add_f16_sdwa v30, v48, v49 dst_sel:DWORD dst_unused:UNUSED_PAD src0_sel:WORD_1 src1_sel:DWORD
	v_add_f16_e32 v27, v48, v27
	v_add_f16_e32 v22, v23, v22
	;; [unrolled: 1-line block ×3, first 2 shown]
	v_add_f16_sdwa v25, v3, v25 dst_sel:DWORD dst_unused:UNUSED_PAD src0_sel:DWORD src1_sel:WORD_1
	v_add_f16_sdwa v30, v26, v30 dst_sel:DWORD dst_unused:UNUSED_PAD src0_sel:WORD_1 src1_sel:DWORD
	v_add_f16_e32 v26, v26, v27
	v_add_f16_e32 v16, v22, v16
	v_add_f16_sdwa v22, v3, v29 dst_sel:DWORD dst_unused:UNUSED_PAD src0_sel:DWORD src1_sel:WORD_1
	v_add_f16_e32 v3, v3, v29
	v_add_f16_e32 v23, v43, v23
	v_add_f16_sdwa v25, v43, v25 dst_sel:DWORD dst_unused:UNUSED_PAD src0_sel:WORD_1 src1_sel:DWORD
	v_add_f16_e32 v12, v16, v12
	v_pk_add_f16 v16, v38, v44 neg_lo:[0,1] neg_hi:[0,1]
	v_pk_add_f16 v29, v39, v47 neg_lo:[0,1] neg_hi:[0,1]
	v_add_f16_sdwa v27, v31, v30 dst_sel:DWORD dst_unused:UNUSED_PAD src0_sel:WORD_1 src1_sel:DWORD
	v_add_f16_e32 v23, v24, v23
	v_pk_add_f16 v30, v42, v66 neg_lo:[0,1] neg_hi:[0,1]
	v_add_f16_sdwa v22, v16, v22 dst_sel:DWORD dst_unused:UNUSED_PAD src0_sel:WORD_1 src1_sel:DWORD
	v_add_f16_e32 v3, v16, v3
	v_add_f16_sdwa v24, v24, v25 dst_sel:DWORD dst_unused:UNUSED_PAD src0_sel:WORD_1 src1_sel:DWORD
	v_pk_add_f16 v25, v45, v67 neg_lo:[0,1] neg_hi:[0,1]
	v_add_f16_e32 v23, v30, v23
	v_add_f16_sdwa v16, v29, v22 dst_sel:DWORD dst_unused:UNUSED_PAD src0_sel:WORD_1 src1_sel:DWORD
	v_pk_add_f16 v22, v40, v54 neg_lo:[0,1] neg_hi:[0,1]
	v_add_f16_e32 v3, v29, v3
	v_mul_u32_u24_e32 v29, 26, v32
	v_add_f16_sdwa v24, v30, v24 dst_sel:DWORD dst_unused:UNUSED_PAD src0_sel:WORD_1 src1_sel:DWORD
	v_pk_add_f16 v28, v36, v28 neg_lo:[0,1] neg_hi:[0,1]
	v_add_f16_sdwa v16, v22, v16 dst_sel:DWORD dst_unused:UNUSED_PAD src0_sel:WORD_1 src1_sel:DWORD
	v_add_f16_e32 v3, v22, v3
	v_or_b32_e32 v6, v29, v6
	v_add_f16_e32 v23, v25, v23
	v_pk_add_f16 v22, v35, v68 neg_lo:[0,1] neg_hi:[0,1]
	v_add_f16_sdwa v24, v25, v24 dst_sel:DWORD dst_unused:UNUSED_PAD src0_sel:WORD_1 src1_sel:DWORD
	v_add_f16_sdwa v16, v28, v16 dst_sel:DWORD dst_unused:UNUSED_PAD src0_sel:WORD_1 src1_sel:DWORD
	v_pk_add_f16 v25, v37, v55 neg_lo:[0,1] neg_hi:[0,1]
	v_add_f16_e32 v3, v28, v3
	v_lshl_add_u32 v6, v6, 1, 0
	v_add_f16_e32 v23, v22, v23
	v_add_f16_e32 v26, v31, v26
	v_add_f16_sdwa v16, v25, v16 dst_sel:DWORD dst_unused:UNUSED_PAD src0_sel:WORD_1 src1_sel:DWORD
	v_add_f16_sdwa v22, v22, v24 dst_sel:DWORD dst_unused:UNUSED_PAD src0_sel:WORD_1 src1_sel:DWORD
	v_add_f16_e32 v3, v25, v3
	ds_write_b16 v6, v12
	ds_write_b16 v6, v23 offset:4
	ds_write_b16 v6, v27 offset:8
	;; [unrolled: 1-line block ×7, first 2 shown]
	ds_write_b16_d16_hi v6, v33 offset:32
	ds_write_b16_d16_hi v6, v7 offset:36
	ds_write_b16 v6, v34 offset:40
	ds_write_b16_d16_hi v6, v34 offset:44
	ds_write_b16 v6, v33 offset:48
.LBB0_27:
	s_or_b32 exec_lo, exec_lo, s4
	s_waitcnt lgkmcnt(0)
	s_barrier
	buffer_gl0_inv
	ds_read_u16 v3, v14
	ds_read_u16 v35, v14 offset:572
	ds_read_u16 v32, v14 offset:1144
	;; [unrolled: 1-line block ×6, first 2 shown]
                                        ; implicit-def: $vgpr16
	s_and_saveexec_b32 s1, s0
	s_cbranch_execz .LBB0_29
; %bb.28:
	ds_read_u16 v33, v14 offset:3224
	ds_read_u16 v7, v14 offset:364
	ds_read_u16 v34, v14 offset:2080
	s_waitcnt lgkmcnt(2)
	ds_read_u16_d16_hi v33, v14 offset:936
	ds_read_u16 v16, v14 offset:3796
	s_waitcnt lgkmcnt(3)
	ds_read_u16_d16_hi v7, v14 offset:1508
	s_waitcnt lgkmcnt(3)
	ds_read_u16_d16_hi v34, v14 offset:2652
.LBB0_29:
	s_or_b32 exec_lo, exec_lo, s1
	v_and_b32_e32 v6, 0xff, v0
	v_mov_b32_e32 v12, 0x4ec5
	v_mov_b32_e32 v27, 6
	;; [unrolled: 1-line block ×3, first 2 shown]
	s_waitcnt lgkmcnt(1)
	v_lshrrev_b32_e32 v57, 16, v7
	v_mul_lo_u16 v6, 0x4f, v6
	v_mul_u32_u24_sdwa v12, v2, v12 dst_sel:DWORD dst_unused:UNUSED_PAD src0_sel:WORD_0 src1_sel:DWORD
	v_lshrrev_b32_e32 v58, 16, v5
	v_lshrrev_b32_e32 v55, 16, v1
	;; [unrolled: 1-line block ×3, first 2 shown]
	v_lshrrev_b16 v6, 11, v6
	v_lshrrev_b32_e32 v12, 19, v12
	s_waitcnt lgkmcnt(0)
	v_lshrrev_b32_e32 v59, 16, v34
	v_lshrrev_b32_e32 v60, 16, v4
	v_mul_lo_u16 v26, v6, 26
	v_mul_lo_u16 v29, v12, 26
	v_sub_nc_u16 v26, v0, v26
	v_sub_nc_u16 v2, v2, v29
	v_mul_u32_u24_sdwa v28, v26, v27 dst_sel:DWORD dst_unused:UNUSED_PAD src0_sel:BYTE_0 src1_sel:DWORD
	v_mul_u32_u24_sdwa v27, v2, v27 dst_sel:DWORD dst_unused:UNUSED_PAD src0_sel:WORD_0 src1_sel:DWORD
	v_lshlrev_b32_sdwa v26, v39, v26 dst_sel:DWORD dst_unused:UNUSED_PAD src0_sel:DWORD src1_sel:BYTE_0
	v_lshlrev_b32_e32 v28, 2, v28
	v_lshlrev_b32_e32 v27, 2, v27
	s_clause 0x3
	global_load_dwordx4 v[43:46], v28, s[8:9] offset:96
	global_load_dwordx2 v[51:52], v28, s[8:9] offset:112
	global_load_dwordx4 v[47:50], v27, s[8:9] offset:96
	global_load_dwordx2 v[53:54], v27, s[8:9] offset:112
	v_mov_b32_e32 v27, 0x16c
	s_waitcnt vmcnt(0)
	s_barrier
	buffer_gl0_inv
	v_mul_u32_u24_sdwa v27, v6, v27 dst_sel:DWORD dst_unused:UNUSED_PAD src0_sel:WORD_0 src1_sel:DWORD
	v_mul_lo_u16 v6, 0xb6, v12
	v_add3_u32 v12, 0, v27, v26
	v_mul_f16_sdwa v41, v23, v51 dst_sel:DWORD dst_unused:UNUSED_PAD src0_sel:DWORD src1_sel:WORD_1
	v_mul_f16_sdwa v37, v35, v43 dst_sel:DWORD dst_unused:UNUSED_PAD src0_sel:DWORD src1_sel:WORD_1
	;; [unrolled: 1-line block ×13, first 2 shown]
	v_fmac_f16_e32 v37, v21, v43
	v_fmac_f16_e32 v36, v20, v44
	;; [unrolled: 1-line block ×4, first 2 shown]
	v_mul_f16_sdwa v26, v57, v48 dst_sel:DWORD dst_unused:UNUSED_PAD src0_sel:DWORD src1_sel:WORD_1
	v_mul_f16_sdwa v69, v58, v49 dst_sel:DWORD dst_unused:UNUSED_PAD src0_sel:DWORD src1_sel:WORD_1
	;; [unrolled: 1-line block ×3, first 2 shown]
	v_fma_f16 v21, v35, v43, -v61
	v_fma_f16 v20, v32, v44, -v62
	v_fmac_f16_e32 v38, v19, v45
	v_fma_f16 v19, v25, v45, -v63
	v_fmac_f16_e32 v40, v18, v46
	v_fma_f16 v18, v24, v46, -v64
	v_fma_f16 v17, v23, v51, -v65
	;; [unrolled: 1-line block ×3, first 2 shown]
	v_fmac_f16_e32 v31, v15, v54
	v_add_f16_e32 v15, v37, v42
	v_add_f16_e32 v23, v36, v41
	v_mul_f16_sdwa v68, v5, v48 dst_sel:DWORD dst_unused:UNUSED_PAD src0_sel:DWORD src1_sel:WORD_1
	v_mul_f16_sdwa v28, v34, v49 dst_sel:DWORD dst_unused:UNUSED_PAD src0_sel:DWORD src1_sel:WORD_1
	v_fmac_f16_e32 v26, v5, v48
	v_fma_f16 v5, v34, v49, -v69
	v_sub_f16_e32 v24, v21, v22
	v_add_f16_e32 v25, v38, v40
	v_sub_f16_e32 v34, v20, v17
	v_sub_f16_e32 v35, v18, v19
	v_add_f16_e32 v43, v23, v15
	v_mul_f16_sdwa v27, v56, v47 dst_sel:DWORD dst_unused:UNUSED_PAD src0_sel:DWORD src1_sel:WORD_1
	v_mul_f16_sdwa v67, v55, v47 dst_sel:DWORD dst_unused:UNUSED_PAD src0_sel:DWORD src1_sel:WORD_1
	v_sub_f16_e32 v44, v23, v15
	v_sub_f16_e32 v15, v15, v25
	;; [unrolled: 1-line block ×3, first 2 shown]
	v_add_f16_e32 v45, v35, v34
	v_sub_f16_e32 v46, v35, v34
	v_sub_f16_e32 v34, v34, v24
	v_add_f16_e32 v25, v25, v43
	v_fmac_f16_e32 v27, v55, v47
	v_fma_f16 v13, v56, v47, -v67
	v_sub_f16_e32 v35, v24, v35
	v_add_f16_e32 v24, v45, v24
	v_mul_f16_e32 v15, 0x3a52, v15
	v_mul_f16_e32 v43, 0x2b26, v23
	;; [unrolled: 1-line block ×4, first 2 shown]
	v_add_f16_e32 v47, v11, v25
	v_fmamk_f16 v11, v23, 0x2b26, v15
	v_fma_f16 v23, v44, 0x39e0, -v43
	v_fmamk_f16 v43, v35, 0xb574, v45
	v_fma_f16 v34, v34, 0xbb00, -v45
	v_fma_f16 v35, v35, 0x3574, -v46
	v_fmamk_f16 v25, v25, 0xbcab, v47
	v_fma_f16 v15, v44, 0xb9e0, -v15
	v_mul_f16_sdwa v29, v59, v50 dst_sel:DWORD dst_unused:UNUSED_PAD src0_sel:DWORD src1_sel:WORD_1
	v_mul_f16_sdwa v70, v4, v50 dst_sel:DWORD dst_unused:UNUSED_PAD src0_sel:DWORD src1_sel:WORD_1
	;; [unrolled: 1-line block ×4, first 2 shown]
	v_fmac_f16_e32 v43, 0xb70e, v24
	v_fmac_f16_e32 v34, 0xb70e, v24
	;; [unrolled: 1-line block ×3, first 2 shown]
	v_add_f16_e32 v24, v11, v25
	v_add_f16_e32 v15, v15, v25
	;; [unrolled: 1-line block ×3, first 2 shown]
	v_fma_f16 v32, v57, v48, -v68
	v_fmac_f16_e32 v28, v58, v49
	v_fmac_f16_e32 v29, v4, v50
	v_fma_f16 v4, v59, v50, -v70
	v_fmac_f16_e32 v30, v60, v53
	v_fma_f16 v33, v33, v53, -v71
	v_fma_f16 v11, v16, v54, -v72
	v_add_f16_e32 v16, v43, v24
	v_add_f16_e32 v25, v35, v15
	v_sub_f16_e32 v44, v23, v34
	v_add_f16_e32 v23, v34, v23
	v_sub_f16_e32 v15, v15, v35
	ds_write_b16 v12, v47
	v_sub_f16_e32 v24, v24, v43
	ds_write_b16 v12, v16 offset:52
	ds_write_b16 v12, v25 offset:104
	;; [unrolled: 1-line block ×6, first 2 shown]
	s_and_saveexec_b32 s1, s0
	s_cbranch_execz .LBB0_31
; %bb.30:
	v_add_f16_e32 v15, v27, v31
	v_add_f16_e32 v16, v26, v30
	v_add_f16_e32 v23, v28, v29
	v_sub_f16_e32 v25, v4, v5
	v_sub_f16_e32 v35, v32, v33
	;; [unrolled: 1-line block ×3, first 2 shown]
	v_add_f16_e32 v34, v16, v15
	v_sub_f16_e32 v43, v15, v23
	v_sub_f16_e32 v44, v23, v16
	;; [unrolled: 1-line block ×4, first 2 shown]
	v_add_f16_e32 v23, v23, v34
	v_sub_f16_e32 v34, v25, v35
	v_add_f16_e32 v25, v25, v35
	v_sub_f16_e32 v35, v35, v24
	v_mul_f16_e32 v43, 0x3a52, v43
	v_add_f16_e32 v1, v1, v23
	v_mul_f16_e32 v34, 0x3846, v34
	v_add_f16_e32 v24, v25, v24
	v_mul_f16_e32 v16, 0xbb00, v35
	v_fmamk_f16 v46, v44, 0x2b26, v43
	v_fma_f16 v25, v15, 0xb9e0, -v43
	v_mul_f16_e32 v43, 0x2b26, v44
	v_fmamk_f16 v23, v23, 0xbcab, v1
	v_fmamk_f16 v47, v45, 0xb574, v34
	v_fma_f16 v16, v45, 0x3574, -v16
	v_fma_f16 v34, v35, 0xbb00, -v34
	;; [unrolled: 1-line block ×3, first 2 shown]
	v_lshlrev_b32_sdwa v35, v39, v2 dst_sel:DWORD dst_unused:UNUSED_PAD src0_sel:DWORD src1_sel:WORD_0
	v_lshlrev_b32_sdwa v39, v39, v6 dst_sel:DWORD dst_unused:UNUSED_PAD src0_sel:DWORD src1_sel:WORD_0
	v_add_f16_e32 v44, v46, v23
	v_fmac_f16_e32 v47, 0xb70e, v24
	v_add_f16_e32 v25, v25, v23
	v_fmac_f16_e32 v16, 0xb70e, v24
	v_fmac_f16_e32 v34, 0xb70e, v24
	v_add_f16_e32 v15, v15, v23
	v_add3_u32 v24, 0, v35, v39
	v_add_f16_e32 v35, v47, v44
	v_sub_f16_e32 v23, v25, v16
	v_add_f16_e32 v16, v16, v25
	v_sub_f16_e32 v25, v15, v34
	;; [unrolled: 2-line block ×3, first 2 shown]
	ds_write_b16 v24, v1
	ds_write_b16 v24, v35 offset:52
	ds_write_b16 v24, v16 offset:104
	ds_write_b16 v24, v25 offset:156
	ds_write_b16 v24, v15 offset:208
	ds_write_b16 v24, v23 offset:260
	ds_write_b16 v24, v43 offset:312
.LBB0_31:
	s_or_b32 exec_lo, exec_lo, s1
	v_add_f16_e32 v1, v21, v22
	v_add_f16_e32 v15, v20, v17
	;; [unrolled: 1-line block ×3, first 2 shown]
	v_sub_f16_e32 v18, v36, v41
	v_sub_f16_e32 v19, v40, v38
	;; [unrolled: 1-line block ×3, first 2 shown]
	v_add_f16_e32 v20, v15, v1
	v_sub_f16_e32 v21, v15, v1
	v_sub_f16_e32 v1, v1, v17
	;; [unrolled: 1-line block ×3, first 2 shown]
	v_add_f16_e32 v22, v19, v18
	v_add_f16_e32 v17, v17, v20
	v_sub_f16_e32 v20, v19, v18
	v_sub_f16_e32 v19, v16, v19
	;; [unrolled: 1-line block ×3, first 2 shown]
	v_add_f16_e32 v34, v22, v16
	v_add_f16_e32 v3, v3, v17
	v_mul_f16_e32 v1, 0x3a52, v1
	v_mul_f16_e32 v16, 0x2b26, v15
	v_mul_f16_e32 v20, 0x3846, v20
	v_mul_f16_e32 v22, 0xbb00, v18
	v_fmamk_f16 v17, v17, 0xbcab, v3
	v_fmamk_f16 v15, v15, 0x2b26, v1
	v_fma_f16 v16, v21, 0x39e0, -v16
	v_fma_f16 v1, v21, 0xb9e0, -v1
	v_fmamk_f16 v35, v19, 0xb574, v20
	v_fma_f16 v36, v18, 0xbb00, -v20
	v_fma_f16 v37, v19, 0x3574, -v22
	v_add_f16_e32 v38, v15, v17
	v_add_f16_e32 v39, v16, v17
	;; [unrolled: 1-line block ×3, first 2 shown]
	s_waitcnt lgkmcnt(0)
	s_barrier
	buffer_gl0_inv
	ds_read_u16 v15, v14
	ds_read_u16 v22, v14 offset:364
	ds_read_u16 v21, v14 offset:728
	;; [unrolled: 1-line block ×10, first 2 shown]
	v_fmac_f16_e32 v35, 0xb70e, v34
	v_fmac_f16_e32 v37, 0xb70e, v34
	;; [unrolled: 1-line block ×3, first 2 shown]
	s_waitcnt lgkmcnt(0)
	s_barrier
	v_sub_f16_e32 v34, v38, v35
	v_sub_f16_e32 v40, v1, v37
	v_add_f16_e32 v41, v36, v39
	v_sub_f16_e32 v36, v39, v36
	v_add_f16_e32 v1, v37, v1
	v_add_f16_e32 v35, v35, v38
	buffer_gl0_inv
	ds_write_b16 v12, v3
	ds_write_b16 v12, v34 offset:52
	ds_write_b16 v12, v40 offset:104
	;; [unrolled: 1-line block ×6, first 2 shown]
	s_and_saveexec_b32 s1, s0
	s_cbranch_execz .LBB0_33
; %bb.32:
	v_add_f16_e32 v1, v13, v11
	v_add_f16_e32 v3, v32, v33
	;; [unrolled: 1-line block ×3, first 2 shown]
	v_sub_f16_e32 v5, v26, v30
	v_sub_f16_e32 v12, v29, v28
	;; [unrolled: 1-line block ×3, first 2 shown]
	v_add_f16_e32 v13, v3, v1
	v_sub_f16_e32 v26, v3, v1
	v_sub_f16_e32 v1, v1, v4
	;; [unrolled: 1-line block ×3, first 2 shown]
	v_add_f16_e32 v27, v12, v5
	v_add_f16_e32 v4, v4, v13
	v_sub_f16_e32 v13, v12, v5
	v_sub_f16_e32 v5, v5, v11
	;; [unrolled: 1-line block ×3, first 2 shown]
	v_add_f16_e32 v11, v27, v11
	v_add_f16_e32 v7, v7, v4
	v_mul_f16_e32 v1, 0x3a52, v1
	v_mul_f16_e32 v27, 0x2b26, v3
	;; [unrolled: 1-line block ×4, first 2 shown]
	v_fmamk_f16 v4, v4, 0xbcab, v7
	v_fmamk_f16 v3, v3, 0x2b26, v1
	v_fma_f16 v27, v26, 0x39e0, -v27
	v_fma_f16 v1, v26, 0xb9e0, -v1
	v_fmamk_f16 v26, v12, 0xb574, v13
	v_fma_f16 v5, v5, 0xbb00, -v13
	v_mov_b32_e32 v13, 1
	v_fma_f16 v12, v12, 0x3574, -v28
	v_add_f16_e32 v3, v3, v4
	v_add_f16_e32 v27, v27, v4
	;; [unrolled: 1-line block ×3, first 2 shown]
	v_lshlrev_b32_sdwa v2, v13, v2 dst_sel:DWORD dst_unused:UNUSED_PAD src0_sel:DWORD src1_sel:WORD_0
	v_lshlrev_b32_sdwa v4, v13, v6 dst_sel:DWORD dst_unused:UNUSED_PAD src0_sel:DWORD src1_sel:WORD_0
	v_fmac_f16_e32 v26, 0xb70e, v11
	v_fmac_f16_e32 v12, 0xb70e, v11
	;; [unrolled: 1-line block ×3, first 2 shown]
	v_add3_u32 v2, 0, v2, v4
	v_sub_f16_e32 v6, v3, v26
	v_sub_f16_e32 v11, v1, v12
	v_add_f16_e32 v4, v5, v27
	v_sub_f16_e32 v5, v27, v5
	v_add_f16_e32 v1, v12, v1
	v_add_f16_e32 v3, v26, v3
	ds_write_b16 v2, v7
	ds_write_b16 v2, v6 offset:52
	ds_write_b16 v2, v11 offset:104
	;; [unrolled: 1-line block ×6, first 2 shown]
.LBB0_33:
	s_or_b32 exec_lo, exec_lo, s1
	s_waitcnt lgkmcnt(0)
	s_barrier
	buffer_gl0_inv
	s_and_saveexec_b32 s0, vcc_lo
	s_cbranch_execz .LBB0_35
; %bb.34:
	v_mul_u32_u24_e32 v0, 10, v0
	v_mov_b32_e32 v11, 0
	v_add_co_u32 v8, vcc_lo, s2, v8
	v_add_co_ci_u32_e32 v9, vcc_lo, s3, v9, vcc_lo
	v_lshlrev_b32_e32 v4, 2, v0
	v_lshlrev_b64 v[31:32], 2, v[10:11]
	s_clause 0x2
	global_load_dwordx4 v[0:3], v4, s[8:9] offset:720
	global_load_dwordx2 v[12:13], v4, s[8:9] offset:752
	global_load_dwordx4 v[4:7], v4, s[8:9] offset:736
	ds_read_u16 v29, v14 offset:1092
	ds_read_u16 v27, v14 offset:1456
	;; [unrolled: 1-line block ×7, first 2 shown]
	ds_read_u16 v10, v14
	ds_read_u16 v34, v14 offset:3640
	ds_read_u16 v35, v14 offset:3276
	;; [unrolled: 1-line block ×3, first 2 shown]
	v_add_co_u32 v8, vcc_lo, v8, v31
	v_add_co_ci_u32_e32 v9, vcc_lo, v9, v32, vcc_lo
	v_add_co_u32 v31, vcc_lo, 0x800, v8
	v_add_co_ci_u32_e32 v32, vcc_lo, 0, v9, vcc_lo
	s_waitcnt vmcnt(2)
	v_lshrrev_b32_e32 v36, 16, v0
	v_lshrrev_b32_e32 v37, 16, v1
	;; [unrolled: 1-line block ×4, first 2 shown]
	v_mul_f16_e32 v40, v22, v0
	s_waitcnt vmcnt(1)
	v_lshrrev_b32_e32 v41, 16, v12
	v_lshrrev_b32_e32 v42, 16, v13
	v_mul_f16_e32 v43, v25, v13
	v_mul_f16_e32 v44, v21, v1
	;; [unrolled: 1-line block ×4, first 2 shown]
	s_waitcnt vmcnt(0)
	v_lshrrev_b32_e32 v47, 16, v4
	v_lshrrev_b32_e32 v48, 16, v5
	;; [unrolled: 1-line block ×4, first 2 shown]
	v_mul_f16_e32 v51, v23, v7
	v_mul_f16_e32 v52, v18, v3
	;; [unrolled: 1-line block ×5, first 2 shown]
	s_waitcnt lgkmcnt(4)
	v_fmac_f16_e32 v40, v33, v36
	s_waitcnt lgkmcnt(2)
	v_fmac_f16_e32 v43, v34, v42
	v_mul_f16_e32 v25, v25, v42
	v_mul_f16_e32 v22, v22, v36
	v_fmac_f16_e32 v44, v11, v37
	s_waitcnt lgkmcnt(1)
	v_fmac_f16_e32 v45, v35, v41
	v_mul_f16_e32 v24, v24, v41
	v_mul_f16_e32 v21, v21, v37
	;; [unrolled: 5-line block ×3, first 2 shown]
	v_fmac_f16_e32 v52, v27, v39
	v_fmac_f16_e32 v53, v30, v49
	v_mul_f16_e32 v20, v20, v49
	v_mul_f16_e32 v18, v18, v39
	v_fmac_f16_e32 v54, v26, v47
	v_fmac_f16_e32 v55, v28, v48
	v_mul_f16_e32 v17, v17, v48
	v_mul_f16_e32 v16, v16, v47
	v_sub_f16_e32 v36, v40, v43
	v_fma_f16 v13, v34, v13, -v25
	v_fma_f16 v0, v33, v0, -v22
	v_sub_f16_e32 v22, v44, v45
	v_fma_f16 v12, v35, v12, -v24
	v_fma_f16 v1, v11, v1, -v21
	;; [unrolled: 3-line block ×5, first 2 shown]
	v_add_f16_e32 v17, v15, v40
	v_add_f16_e32 v16, v40, v43
	;; [unrolled: 1-line block ×3, first 2 shown]
	v_mul_f16_e32 v24, 0xb853, v36
	v_add_f16_e32 v25, v0, v13
	v_mul_f16_e32 v26, 0xbb47, v22
	v_add_f16_e32 v27, v1, v12
	;; [unrolled: 2-line block ×5, first 2 shown]
	v_sub_f16_e32 v37, v0, v13
	v_mul_f16_e32 v38, 0xbb47, v36
	v_mul_f16_e32 v39, 0xba0c, v22
	;; [unrolled: 1-line block ×20, first 2 shown]
	v_add_f16_e32 v0, v0, v10
	v_sub_f16_e32 v62, v1, v12
	v_add_f16_e32 v17, v17, v44
	v_sub_f16_e32 v44, v2, v7
	v_sub_f16_e32 v63, v18, v6
	;; [unrolled: 1-line block ×3, first 2 shown]
	v_add_f16_e32 v20, v46, v51
	v_add_f16_e32 v21, v52, v53
	;; [unrolled: 1-line block ×3, first 2 shown]
	v_fmamk_f16 v65, v25, 0x3abb, v24
	v_fmamk_f16 v66, v27, 0x36a6, v26
	;; [unrolled: 1-line block ×21, first 2 shown]
	v_fma_f16 v36, v25, 0xbbad, -v36
	v_fma_f16 v57, v25, 0xb93d, -v57
	v_fma_f16 v47, v25, 0xb08e, -v47
	v_fma_f16 v38, v25, 0x36a6, -v38
	v_fma_f16 v24, v25, 0x3abb, -v24
	v_fmamk_f16 v25, v27, 0x3abb, v22
	v_fma_f16 v22, v27, 0x3abb, -v22
	v_fma_f16 v58, v27, 0xb08e, -v58
	v_fma_f16 v48, v27, 0xbbad, -v48
	v_fma_f16 v39, v27, 0xb93d, -v39
	v_fma_f16 v26, v27, 0x36a6, -v26
	v_fmamk_f16 v27, v29, 0xb93d, v11
	;; [unrolled: 6-line block ×4, first 2 shown]
	v_fma_f16 v86, v35, 0xb08e, -v3
	v_fma_f16 v61, v35, 0x36a6, -v61
	;; [unrolled: 1-line block ×5, first 2 shown]
	v_mul_f16_e32 v35, 0xb853, v37
	v_mul_f16_e32 v87, 0xbb47, v37
	v_mul_f16_e32 v88, 0xbbeb, v37
	v_mul_f16_e32 v89, 0xba0c, v37
	v_mul_f16_e32 v37, 0xb482, v37
	v_add_f16_e32 v3, v0, v1
	v_mul_f16_e32 v90, 0x3853, v62
	v_mul_f16_e32 v91, 0xbb47, v62
	;; [unrolled: 1-line block ×5, first 2 shown]
	v_add_f16_e32 v17, v17, v46
	v_mul_f16_e32 v46, 0xba0c, v44
	v_mul_f16_e32 v94, 0xbbeb, v44
	;; [unrolled: 1-line block ×15, first 2 shown]
	v_add_f16_e32 v65, v10, v65
	v_add_f16_e32 v70, v10, v70
	;; [unrolled: 1-line block ×10, first 2 shown]
	v_fma_f16 v24, v16, 0xbbad, -v37
	v_fmac_f16_e32 v37, 0xbbad, v16
	v_fma_f16 v105, v16, 0xb93d, -v89
	v_fmac_f16_e32 v89, 0xb93d, v16
	;; [unrolled: 2-line block ×25, first 2 shown]
	v_add_f16_e32 v23, v3, v2
	v_add_f16_e32 v17, v17, v52
	;; [unrolled: 1-line block ×103, first 2 shown]
	v_add_co_u32 v0, vcc_lo, 0x1000, v8
	v_add_f16_e32 v17, v43, v17
	v_add_f16_e32 v4, v13, v4
	v_add_co_ci_u32_e32 v1, vcc_lo, 0, v9, vcc_lo
	v_pack_b32_f16 v7, v7, v10
	v_pack_b32_f16 v11, v14, v11
	;; [unrolled: 1-line block ×3, first 2 shown]
	v_add_co_u32 v2, vcc_lo, 0x1800, v8
	v_pack_b32_f16 v10, v15, v27
	v_pack_b32_f16 v16, v30, v35
	v_pack_b32_f16 v12, v21, v22
	v_pack_b32_f16 v15, v20, v19
	v_pack_b32_f16 v19, v26, v28
	v_add_co_ci_u32_e32 v3, vcc_lo, 0, v9, vcc_lo
	v_pack_b32_f16 v18, v18, v23
	v_pack_b32_f16 v4, v17, v4
	;; [unrolled: 1-line block ×3, first 2 shown]
	global_store_dword v[8:9], v7, off offset:728
	global_store_dword v[8:9], v10, off offset:1456
	;; [unrolled: 1-line block ×9, first 2 shown]
	global_store_dword v[8:9], v4, off
	global_store_dword v[2:3], v5, off offset:1136
.LBB0_35:
	s_endpgm
	.section	.rodata,"a",@progbits
	.p2align	6, 0x0
	.amdhsa_kernel fft_rtc_back_len2002_factors_2_13_7_11_wgs_182_tpt_182_halfLds_half_ip_CI_unitstride_sbrr_dirReg
		.amdhsa_group_segment_fixed_size 0
		.amdhsa_private_segment_fixed_size 0
		.amdhsa_kernarg_size 88
		.amdhsa_user_sgpr_count 6
		.amdhsa_user_sgpr_private_segment_buffer 1
		.amdhsa_user_sgpr_dispatch_ptr 0
		.amdhsa_user_sgpr_queue_ptr 0
		.amdhsa_user_sgpr_kernarg_segment_ptr 1
		.amdhsa_user_sgpr_dispatch_id 0
		.amdhsa_user_sgpr_flat_scratch_init 0
		.amdhsa_user_sgpr_private_segment_size 0
		.amdhsa_wavefront_size32 1
		.amdhsa_uses_dynamic_stack 0
		.amdhsa_system_sgpr_private_segment_wavefront_offset 0
		.amdhsa_system_sgpr_workgroup_id_x 1
		.amdhsa_system_sgpr_workgroup_id_y 0
		.amdhsa_system_sgpr_workgroup_id_z 0
		.amdhsa_system_sgpr_workgroup_info 0
		.amdhsa_system_vgpr_workitem_id 0
		.amdhsa_next_free_vgpr 125
		.amdhsa_next_free_sgpr 21
		.amdhsa_reserve_vcc 1
		.amdhsa_reserve_flat_scratch 0
		.amdhsa_float_round_mode_32 0
		.amdhsa_float_round_mode_16_64 0
		.amdhsa_float_denorm_mode_32 3
		.amdhsa_float_denorm_mode_16_64 3
		.amdhsa_dx10_clamp 1
		.amdhsa_ieee_mode 1
		.amdhsa_fp16_overflow 0
		.amdhsa_workgroup_processor_mode 1
		.amdhsa_memory_ordered 1
		.amdhsa_forward_progress 0
		.amdhsa_shared_vgpr_count 0
		.amdhsa_exception_fp_ieee_invalid_op 0
		.amdhsa_exception_fp_denorm_src 0
		.amdhsa_exception_fp_ieee_div_zero 0
		.amdhsa_exception_fp_ieee_overflow 0
		.amdhsa_exception_fp_ieee_underflow 0
		.amdhsa_exception_fp_ieee_inexact 0
		.amdhsa_exception_int_div_zero 0
	.end_amdhsa_kernel
	.text
.Lfunc_end0:
	.size	fft_rtc_back_len2002_factors_2_13_7_11_wgs_182_tpt_182_halfLds_half_ip_CI_unitstride_sbrr_dirReg, .Lfunc_end0-fft_rtc_back_len2002_factors_2_13_7_11_wgs_182_tpt_182_halfLds_half_ip_CI_unitstride_sbrr_dirReg
                                        ; -- End function
	.section	.AMDGPU.csdata,"",@progbits
; Kernel info:
; codeLenInByte = 10280
; NumSgprs: 23
; NumVgprs: 125
; ScratchSize: 0
; MemoryBound: 0
; FloatMode: 240
; IeeeMode: 1
; LDSByteSize: 0 bytes/workgroup (compile time only)
; SGPRBlocks: 2
; VGPRBlocks: 15
; NumSGPRsForWavesPerEU: 23
; NumVGPRsForWavesPerEU: 125
; Occupancy: 8
; WaveLimiterHint : 1
; COMPUTE_PGM_RSRC2:SCRATCH_EN: 0
; COMPUTE_PGM_RSRC2:USER_SGPR: 6
; COMPUTE_PGM_RSRC2:TRAP_HANDLER: 0
; COMPUTE_PGM_RSRC2:TGID_X_EN: 1
; COMPUTE_PGM_RSRC2:TGID_Y_EN: 0
; COMPUTE_PGM_RSRC2:TGID_Z_EN: 0
; COMPUTE_PGM_RSRC2:TIDIG_COMP_CNT: 0
	.text
	.p2alignl 6, 3214868480
	.fill 48, 4, 3214868480
	.type	__hip_cuid_5cb95f0df0264666,@object ; @__hip_cuid_5cb95f0df0264666
	.section	.bss,"aw",@nobits
	.globl	__hip_cuid_5cb95f0df0264666
__hip_cuid_5cb95f0df0264666:
	.byte	0                               ; 0x0
	.size	__hip_cuid_5cb95f0df0264666, 1

	.ident	"AMD clang version 19.0.0git (https://github.com/RadeonOpenCompute/llvm-project roc-6.4.0 25133 c7fe45cf4b819c5991fe208aaa96edf142730f1d)"
	.section	".note.GNU-stack","",@progbits
	.addrsig
	.addrsig_sym __hip_cuid_5cb95f0df0264666
	.amdgpu_metadata
---
amdhsa.kernels:
  - .args:
      - .actual_access:  read_only
        .address_space:  global
        .offset:         0
        .size:           8
        .value_kind:     global_buffer
      - .offset:         8
        .size:           8
        .value_kind:     by_value
      - .actual_access:  read_only
        .address_space:  global
        .offset:         16
        .size:           8
        .value_kind:     global_buffer
      - .actual_access:  read_only
        .address_space:  global
        .offset:         24
        .size:           8
        .value_kind:     global_buffer
      - .offset:         32
        .size:           8
        .value_kind:     by_value
      - .actual_access:  read_only
        .address_space:  global
        .offset:         40
        .size:           8
        .value_kind:     global_buffer
      - .actual_access:  read_only
        .address_space:  global
        .offset:         48
        .size:           8
        .value_kind:     global_buffer
      - .offset:         56
        .size:           4
        .value_kind:     by_value
      - .actual_access:  read_only
        .address_space:  global
        .offset:         64
        .size:           8
        .value_kind:     global_buffer
      - .actual_access:  read_only
        .address_space:  global
        .offset:         72
        .size:           8
        .value_kind:     global_buffer
      - .address_space:  global
        .offset:         80
        .size:           8
        .value_kind:     global_buffer
    .group_segment_fixed_size: 0
    .kernarg_segment_align: 8
    .kernarg_segment_size: 88
    .language:       OpenCL C
    .language_version:
      - 2
      - 0
    .max_flat_workgroup_size: 182
    .name:           fft_rtc_back_len2002_factors_2_13_7_11_wgs_182_tpt_182_halfLds_half_ip_CI_unitstride_sbrr_dirReg
    .private_segment_fixed_size: 0
    .sgpr_count:     23
    .sgpr_spill_count: 0
    .symbol:         fft_rtc_back_len2002_factors_2_13_7_11_wgs_182_tpt_182_halfLds_half_ip_CI_unitstride_sbrr_dirReg.kd
    .uniform_work_group_size: 1
    .uses_dynamic_stack: false
    .vgpr_count:     125
    .vgpr_spill_count: 0
    .wavefront_size: 32
    .workgroup_processor_mode: 1
amdhsa.target:   amdgcn-amd-amdhsa--gfx1030
amdhsa.version:
  - 1
  - 2
...

	.end_amdgpu_metadata
